;; amdgpu-corpus repo=ROCm/rocFFT kind=compiled arch=gfx1100 opt=O3
	.text
	.amdgcn_target "amdgcn-amd-amdhsa--gfx1100"
	.amdhsa_code_object_version 6
	.protected	fft_rtc_back_len80_factors_10_8_wgs_160_tpt_10_dp_op_CI_CI_sbcc_twdbase8_2step ; -- Begin function fft_rtc_back_len80_factors_10_8_wgs_160_tpt_10_dp_op_CI_CI_sbcc_twdbase8_2step
	.globl	fft_rtc_back_len80_factors_10_8_wgs_160_tpt_10_dp_op_CI_CI_sbcc_twdbase8_2step
	.p2align	8
	.type	fft_rtc_back_len80_factors_10_8_wgs_160_tpt_10_dp_op_CI_CI_sbcc_twdbase8_2step,@function
fft_rtc_back_len80_factors_10_8_wgs_160_tpt_10_dp_op_CI_CI_sbcc_twdbase8_2step: ; @fft_rtc_back_len80_factors_10_8_wgs_160_tpt_10_dp_op_CI_CI_sbcc_twdbase8_2step
; %bb.0:
	s_clause 0x1
	s_load_b128 s[16:19], s[0:1], 0x18
	s_load_b64 s[28:29], s[0:1], 0x28
	s_mov_b32 s30, s15
	s_mov_b32 s31, 0
	s_mov_b64 s[20:21], 0
	s_waitcnt lgkmcnt(0)
	s_load_b64 s[26:27], s[16:17], 0x8
	s_waitcnt lgkmcnt(0)
	s_add_u32 s2, s26, -1
	s_addc_u32 s3, s27, -1
	s_delay_alu instid0(SALU_CYCLE_1) | instskip(NEXT) | instid1(SALU_CYCLE_1)
	s_lshr_b64 s[2:3], s[2:3], 4
	s_add_u32 s34, s2, 1
	s_addc_u32 s35, s3, 0
	s_delay_alu instid0(SALU_CYCLE_1) | instskip(NEXT) | instid1(VALU_DEP_1)
	v_cmp_lt_u64_e64 s2, s[30:31], s[34:35]
	s_and_b32 vcc_lo, exec_lo, s2
	s_cbranch_vccnz .LBB0_2
; %bb.1:
	v_cvt_f32_u32_e32 v1, s34
	s_sub_i32 s3, 0, s34
	s_mov_b32 s21, s31
	s_delay_alu instid0(VALU_DEP_1) | instskip(SKIP_2) | instid1(VALU_DEP_1)
	v_rcp_iflag_f32_e32 v1, v1
	s_waitcnt_depctr 0xfff
	v_mul_f32_e32 v1, 0x4f7ffffe, v1
	v_cvt_u32_f32_e32 v1, v1
	s_delay_alu instid0(VALU_DEP_1) | instskip(NEXT) | instid1(VALU_DEP_1)
	v_readfirstlane_b32 s2, v1
	s_mul_i32 s3, s3, s2
	s_delay_alu instid0(SALU_CYCLE_1) | instskip(NEXT) | instid1(SALU_CYCLE_1)
	s_mul_hi_u32 s3, s2, s3
	s_add_i32 s2, s2, s3
	s_delay_alu instid0(SALU_CYCLE_1) | instskip(NEXT) | instid1(SALU_CYCLE_1)
	s_mul_hi_u32 s2, s30, s2
	s_mul_i32 s3, s2, s34
	s_add_i32 s4, s2, 1
	s_sub_i32 s3, s30, s3
	s_delay_alu instid0(SALU_CYCLE_1)
	s_sub_i32 s5, s3, s34
	s_cmp_ge_u32 s3, s34
	s_cselect_b32 s2, s4, s2
	s_cselect_b32 s3, s5, s3
	s_add_i32 s4, s2, 1
	s_cmp_ge_u32 s3, s34
	s_cselect_b32 s20, s4, s2
.LBB0_2:
	s_load_b128 s[12:15], s[18:19], 0x0
	s_load_b128 s[4:7], s[28:29], 0x0
	;; [unrolled: 1-line block ×3, first 2 shown]
	s_mul_i32 s2, s20, s35
	s_mul_hi_u32 s3, s20, s34
	s_mul_i32 s22, s20, s34
	s_add_i32 s3, s3, s2
	s_sub_u32 s22, s30, s22
	s_subb_u32 s23, 0, s3
	s_clause 0x1
	s_load_b64 s[24:25], s[0:1], 0x0
	s_load_b128 s[0:3], s[0:1], 0x60
	v_alignbit_b32 v1, s23, s22, 28
	s_lshl_b64 s[22:23], s[22:23], 4
	s_waitcnt lgkmcnt(0)
	s_delay_alu instid0(VALU_DEP_1)
	v_mul_lo_u32 v2, s14, v1
	v_mul_lo_u32 v1, s6, v1
	s_mul_hi_u32 s33, s14, s22
	s_mul_hi_u32 s38, s6, s22
	s_mul_i32 s37, s14, s22
	v_cmp_lt_u64_e64 s40, s[10:11], 3
	s_mul_i32 s36, s15, s22
	s_mul_i32 s39, s7, s22
	v_add_nc_u32_e32 v2, s33, v2
	s_mul_i32 s33, s6, s22
	s_delay_alu instid0(SALU_CYCLE_1) | instskip(NEXT) | instid1(VALU_DEP_2)
	v_dual_mov_b32 v40, s33 :: v_dual_add_nc_u32 v3, s38, v1
	v_dual_mov_b32 v1, s37 :: v_dual_add_nc_u32 v2, s36, v2
	s_and_b32 vcc_lo, exec_lo, s40
	s_delay_alu instid0(VALU_DEP_2)
	v_add_nc_u32_e32 v41, s39, v3
	s_cbranch_vccnz .LBB0_11
; %bb.3:
	s_add_u32 s36, s28, 16
	s_addc_u32 s37, s29, 0
	s_add_u32 s38, s18, 16
	s_addc_u32 s39, s19, 0
	;; [unrolled: 2-line block ×3, first 2 shown]
	s_mov_b64 s[40:41], 2
	s_mov_b32 s42, 0
	s_branch .LBB0_5
.LBB0_4:                                ;   in Loop: Header=BB0_5 Depth=1
	s_load_b64 s[48:49], s[38:39], 0x0
	s_load_b64 s[50:51], s[36:37], 0x0
	s_mul_i32 s33, s44, s35
	s_mul_hi_u32 s35, s44, s34
	s_mul_i32 s43, s45, s34
	s_mul_i32 s45, s46, s45
	s_mul_hi_u32 s52, s46, s44
	s_mul_i32 s53, s47, s44
	s_add_i32 s33, s35, s33
	s_add_i32 s45, s52, s45
	s_mul_i32 s54, s46, s44
	s_add_i32 s35, s33, s43
	s_add_i32 s45, s45, s53
	s_sub_u32 s20, s20, s54
	s_subb_u32 s21, s21, s45
	s_mul_i32 s34, s44, s34
	s_waitcnt lgkmcnt(0)
	s_mul_i32 s33, s48, s21
	s_mul_hi_u32 s43, s48, s20
	s_mul_i32 s45, s48, s20
	s_mul_i32 s21, s50, s21
	s_mul_hi_u32 s48, s50, s20
	s_mul_i32 s44, s49, s20
	s_add_i32 s33, s43, s33
	s_add_i32 s21, s48, s21
	s_mul_i32 s43, s51, s20
	s_add_i32 s33, s33, s44
	s_add_i32 s21, s21, s43
	v_add_co_u32 v1, vcc_lo, s45, v1
	s_add_u32 s40, s40, 1
	s_mul_i32 s20, s50, s20
	s_addc_u32 s41, s41, 0
	v_add_co_ci_u32_e32 v2, vcc_lo, s33, v2, vcc_lo
	v_add_co_u32 v40, vcc_lo, s20, v40
	v_cmp_ge_u64_e64 s20, s[40:41], s[10:11]
	s_add_u32 s36, s36, 8
	s_addc_u32 s37, s37, 0
	v_add_co_ci_u32_e32 v41, vcc_lo, s21, v41, vcc_lo
	s_add_u32 s38, s38, 8
	s_addc_u32 s39, s39, 0
	s_add_u32 s16, s16, 8
	s_addc_u32 s17, s17, 0
	s_and_b32 vcc_lo, exec_lo, s20
	s_mov_b64 s[20:21], s[46:47]
	s_cbranch_vccnz .LBB0_9
.LBB0_5:                                ; =>This Inner Loop Header: Depth=1
	s_load_b64 s[44:45], s[16:17], 0x0
	s_mov_b32 s33, -1
	s_waitcnt lgkmcnt(0)
	s_or_b64 s[46:47], s[20:21], s[44:45]
	s_delay_alu instid0(SALU_CYCLE_1) | instskip(NEXT) | instid1(SALU_CYCLE_1)
	s_mov_b32 s43, s47
                                        ; implicit-def: $sgpr46_sgpr47
	s_cmp_lg_u64 s[42:43], 0
	s_cbranch_scc0 .LBB0_7
; %bb.6:                                ;   in Loop: Header=BB0_5 Depth=1
	v_cvt_f32_u32_e32 v3, s44
	v_cvt_f32_u32_e32 v4, s45
	s_sub_u32 s46, 0, s44
	s_subb_u32 s47, 0, s45
	s_delay_alu instid0(VALU_DEP_1) | instskip(NEXT) | instid1(VALU_DEP_1)
	v_fmac_f32_e32 v3, 0x4f800000, v4
	v_rcp_f32_e32 v3, v3
	s_waitcnt_depctr 0xfff
	v_mul_f32_e32 v3, 0x5f7ffffc, v3
	s_delay_alu instid0(VALU_DEP_1) | instskip(NEXT) | instid1(VALU_DEP_1)
	v_mul_f32_e32 v4, 0x2f800000, v3
	v_trunc_f32_e32 v4, v4
	s_delay_alu instid0(VALU_DEP_1) | instskip(SKIP_1) | instid1(VALU_DEP_2)
	v_fmac_f32_e32 v3, 0xcf800000, v4
	v_cvt_u32_f32_e32 v4, v4
	v_cvt_u32_f32_e32 v3, v3
	s_delay_alu instid0(VALU_DEP_2) | instskip(NEXT) | instid1(VALU_DEP_2)
	v_readfirstlane_b32 s33, v4
	v_readfirstlane_b32 s43, v3
	s_delay_alu instid0(VALU_DEP_2) | instskip(NEXT) | instid1(VALU_DEP_1)
	s_mul_i32 s48, s46, s33
	s_mul_hi_u32 s50, s46, s43
	s_mul_i32 s49, s47, s43
	s_add_i32 s48, s50, s48
	s_mul_i32 s51, s46, s43
	s_add_i32 s48, s48, s49
	s_mul_hi_u32 s50, s43, s51
	s_mul_hi_u32 s52, s33, s51
	s_mul_i32 s49, s33, s51
	s_mul_hi_u32 s51, s43, s48
	s_mul_i32 s43, s43, s48
	s_mul_hi_u32 s53, s33, s48
	s_add_u32 s43, s50, s43
	s_addc_u32 s50, 0, s51
	s_add_u32 s43, s43, s49
	s_mul_i32 s48, s33, s48
	s_addc_u32 s43, s50, s52
	s_addc_u32 s49, s53, 0
	s_add_u32 s43, s43, s48
	s_addc_u32 s48, 0, s49
	v_add_co_u32 v3, s43, v3, s43
	s_delay_alu instid0(VALU_DEP_1) | instskip(SKIP_1) | instid1(VALU_DEP_1)
	s_cmp_lg_u32 s43, 0
	s_addc_u32 s33, s33, s48
	v_readfirstlane_b32 s43, v3
	s_mul_i32 s48, s46, s33
	s_delay_alu instid0(VALU_DEP_1)
	s_mul_hi_u32 s49, s46, s43
	s_mul_i32 s47, s47, s43
	s_add_i32 s48, s49, s48
	s_mul_i32 s46, s46, s43
	s_add_i32 s48, s48, s47
	s_mul_hi_u32 s49, s33, s46
	s_mul_i32 s50, s33, s46
	s_mul_hi_u32 s46, s43, s46
	s_mul_hi_u32 s51, s43, s48
	s_mul_i32 s43, s43, s48
	s_mul_hi_u32 s47, s33, s48
	s_add_u32 s43, s46, s43
	s_addc_u32 s46, 0, s51
	s_add_u32 s43, s43, s50
	s_mul_i32 s48, s33, s48
	s_addc_u32 s43, s46, s49
	s_addc_u32 s46, s47, 0
	s_add_u32 s43, s43, s48
	s_addc_u32 s46, 0, s46
	v_add_co_u32 v3, s43, v3, s43
	s_delay_alu instid0(VALU_DEP_1) | instskip(SKIP_1) | instid1(VALU_DEP_1)
	s_cmp_lg_u32 s43, 0
	s_addc_u32 s33, s33, s46
	v_readfirstlane_b32 s43, v3
	s_mul_i32 s47, s20, s33
	s_mul_hi_u32 s46, s20, s33
	s_mul_hi_u32 s48, s21, s33
	s_mul_i32 s33, s21, s33
	s_mul_hi_u32 s49, s20, s43
	s_mul_hi_u32 s50, s21, s43
	s_mul_i32 s43, s21, s43
	s_add_u32 s47, s49, s47
	s_addc_u32 s46, 0, s46
	s_add_u32 s43, s47, s43
	s_addc_u32 s43, s46, s50
	s_addc_u32 s46, s48, 0
	s_add_u32 s43, s43, s33
	s_addc_u32 s46, 0, s46
	s_mul_hi_u32 s33, s44, s43
	s_mul_i32 s48, s44, s46
	s_mul_i32 s49, s44, s43
	s_add_i32 s33, s33, s48
	v_sub_co_u32 v3, s48, s20, s49
	s_mul_i32 s47, s45, s43
	s_delay_alu instid0(SALU_CYCLE_1) | instskip(NEXT) | instid1(VALU_DEP_1)
	s_add_i32 s33, s33, s47
	v_sub_co_u32 v4, s49, v3, s44
	s_sub_i32 s47, s21, s33
	s_cmp_lg_u32 s48, 0
	s_subb_u32 s47, s47, s45
	s_cmp_lg_u32 s49, 0
	v_readfirstlane_b32 s49, v4
	s_subb_u32 s47, s47, 0
	s_delay_alu instid0(SALU_CYCLE_1) | instskip(SKIP_1) | instid1(VALU_DEP_1)
	s_cmp_ge_u32 s47, s45
	s_cselect_b32 s50, -1, 0
	s_cmp_ge_u32 s49, s44
	s_cselect_b32 s49, -1, 0
	s_cmp_eq_u32 s47, s45
	s_cselect_b32 s47, s49, s50
	s_add_u32 s49, s43, 1
	s_addc_u32 s50, s46, 0
	s_add_u32 s51, s43, 2
	s_addc_u32 s52, s46, 0
	s_cmp_lg_u32 s47, 0
	s_cselect_b32 s49, s51, s49
	s_cselect_b32 s47, s52, s50
	s_cmp_lg_u32 s48, 0
	v_readfirstlane_b32 s48, v3
	s_subb_u32 s33, s21, s33
	s_delay_alu instid0(SALU_CYCLE_1) | instskip(SKIP_1) | instid1(VALU_DEP_1)
	s_cmp_ge_u32 s33, s45
	s_cselect_b32 s50, -1, 0
	s_cmp_ge_u32 s48, s44
	s_cselect_b32 s48, -1, 0
	s_cmp_eq_u32 s33, s45
	s_cselect_b32 s33, s48, s50
	s_delay_alu instid0(SALU_CYCLE_1)
	s_cmp_lg_u32 s33, 0
	s_mov_b32 s33, 0
	s_cselect_b32 s47, s47, s46
	s_cselect_b32 s46, s49, s43
.LBB0_7:                                ;   in Loop: Header=BB0_5 Depth=1
	s_and_not1_b32 vcc_lo, exec_lo, s33
	s_cbranch_vccnz .LBB0_4
; %bb.8:                                ;   in Loop: Header=BB0_5 Depth=1
	v_cvt_f32_u32_e32 v3, s44
	s_sub_i32 s43, 0, s44
	s_delay_alu instid0(VALU_DEP_1) | instskip(SKIP_2) | instid1(VALU_DEP_1)
	v_rcp_iflag_f32_e32 v3, v3
	s_waitcnt_depctr 0xfff
	v_mul_f32_e32 v3, 0x4f7ffffe, v3
	v_cvt_u32_f32_e32 v3, v3
	s_delay_alu instid0(VALU_DEP_1) | instskip(NEXT) | instid1(VALU_DEP_1)
	v_readfirstlane_b32 s33, v3
	s_mul_i32 s43, s43, s33
	s_delay_alu instid0(SALU_CYCLE_1) | instskip(NEXT) | instid1(SALU_CYCLE_1)
	s_mul_hi_u32 s43, s33, s43
	s_add_i32 s33, s33, s43
	s_delay_alu instid0(SALU_CYCLE_1) | instskip(NEXT) | instid1(SALU_CYCLE_1)
	s_mul_hi_u32 s33, s20, s33
	s_mul_i32 s43, s33, s44
	s_add_i32 s46, s33, 1
	s_sub_i32 s43, s20, s43
	s_delay_alu instid0(SALU_CYCLE_1)
	s_sub_i32 s47, s43, s44
	s_cmp_ge_u32 s43, s44
	s_cselect_b32 s33, s46, s33
	s_cselect_b32 s43, s47, s43
	s_add_i32 s46, s33, 1
	s_cmp_ge_u32 s43, s44
	s_mov_b32 s47, s42
	s_cselect_b32 s46, s46, s33
	s_branch .LBB0_4
.LBB0_9:
	v_cmp_lt_u64_e64 s16, s[30:31], s[34:35]
	s_mov_b64 s[20:21], 0
	s_delay_alu instid0(VALU_DEP_1)
	s_and_b32 vcc_lo, exec_lo, s16
	s_cbranch_vccnz .LBB0_11
; %bb.10:
	v_cvt_f32_u32_e32 v3, s34
	s_sub_i32 s17, 0, s34
	s_delay_alu instid0(VALU_DEP_1) | instskip(SKIP_2) | instid1(VALU_DEP_1)
	v_rcp_iflag_f32_e32 v3, v3
	s_waitcnt_depctr 0xfff
	v_mul_f32_e32 v3, 0x4f7ffffe, v3
	v_cvt_u32_f32_e32 v3, v3
	s_delay_alu instid0(VALU_DEP_1) | instskip(NEXT) | instid1(VALU_DEP_1)
	v_readfirstlane_b32 s16, v3
	s_mul_i32 s17, s17, s16
	s_delay_alu instid0(SALU_CYCLE_1) | instskip(NEXT) | instid1(SALU_CYCLE_1)
	s_mul_hi_u32 s17, s16, s17
	s_add_i32 s16, s16, s17
	s_delay_alu instid0(SALU_CYCLE_1) | instskip(NEXT) | instid1(SALU_CYCLE_1)
	s_mul_hi_u32 s16, s30, s16
	s_mul_i32 s17, s16, s34
	s_add_i32 s20, s16, 1
	s_sub_i32 s17, s30, s17
	s_delay_alu instid0(SALU_CYCLE_1)
	s_sub_i32 s21, s17, s34
	s_cmp_ge_u32 s17, s34
	s_cselect_b32 s16, s20, s16
	s_cselect_b32 s17, s21, s17
	s_add_i32 s20, s16, 1
	s_cmp_ge_u32 s17, s34
	s_cselect_b32 s20, s20, s16
.LBB0_11:
	v_dual_mov_b32 v4, s23 :: v_dual_and_b32 v49, 15, v0
	s_lshl_b64 s[16:17], s[10:11], 3
	v_lshrrev_b32_e32 v50, 4, v0
	s_add_u32 s10, s28, s16
	s_delay_alu instid0(VALU_DEP_2)
	v_or_b32_e32 v3, s22, v49
	s_addc_u32 s11, s29, s17
	s_add_u32 s28, s22, 16
	s_addc_u32 s29, s23, 0
	v_mul_u32_u24_e32 v51, 0x500, v49
	v_cmp_le_u64_e64 s21, s[28:29], s[26:27]
	v_cmp_gt_u64_e32 vcc_lo, s[26:27], v[3:4]
	v_lshlrev_b32_e32 v52, 4, v50
	v_add_nc_u32_e32 v47, 10, v50
	v_add_nc_u32_e32 v48, 20, v50
	;; [unrolled: 1-line block ×7, first 2 shown]
	s_or_b32 s21, s21, vcc_lo
	s_delay_alu instid0(SALU_CYCLE_1)
	s_and_saveexec_b32 s23, s21
	s_cbranch_execz .LBB0_13
; %bb.12:
	s_add_u32 s16, s18, s16
	s_addc_u32 s17, s19, s17
	v_mad_u64_u32 v[3:4], null, s14, v49, 0
	s_load_b64 s[16:17], s[16:17], 0x0
	v_mad_u64_u32 v[5:6], null, s12, v50, 0
	v_mad_u64_u32 v[7:8], null, s12, v47, 0
	v_lshlrev_b64 v[1:2], 4, v[1:2]
	v_mad_u64_u32 v[13:14], null, s12, v45, 0
	v_add3_u32 v33, 0, v51, v52
	v_mad_u64_u32 v[9:10], null, s15, v49, v[4:5]
	v_mov_b32_e32 v4, v8
	v_mad_u64_u32 v[10:11], null, s13, v50, v[6:7]
	s_delay_alu instid0(VALU_DEP_2) | instskip(NEXT) | instid1(VALU_DEP_2)
	v_mad_u64_u32 v[11:12], null, s13, v47, v[4:5]
	v_mov_b32_e32 v6, v10
	s_waitcnt lgkmcnt(0)
	s_mul_i32 s15, s17, s20
	s_mul_hi_u32 s17, s16, s20
	s_mul_i32 s14, s16, s20
	s_add_i32 s15, s17, s15
	s_delay_alu instid0(VALU_DEP_2)
	v_mov_b32_e32 v8, v11
	v_mad_u64_u32 v[11:12], null, s12, v46, 0
	v_mov_b32_e32 v4, v9
	s_lshl_b64 s[14:15], s[14:15], 4
	v_mad_u64_u32 v[9:10], null, s12, v48, 0
	s_add_u32 s0, s0, s14
	s_delay_alu instid0(VALU_DEP_2) | instskip(SKIP_3) | instid1(VALU_DEP_2)
	v_lshlrev_b64 v[3:4], 4, v[3:4]
	s_addc_u32 s1, s1, s15
	v_add_co_u32 v1, vcc_lo, s0, v1
	v_add_co_ci_u32_e32 v2, vcc_lo, s1, v2, vcc_lo
	v_add_co_u32 v31, vcc_lo, v1, v3
	s_delay_alu instid0(VALU_DEP_2) | instskip(SKIP_3) | instid1(VALU_DEP_2)
	v_add_co_ci_u32_e32 v32, vcc_lo, v2, v4, vcc_lo
	v_lshlrev_b64 v[1:2], 4, v[5:6]
	v_mov_b32_e32 v5, v10
	v_lshlrev_b64 v[3:4], 4, v[7:8]
	v_mad_u64_u32 v[6:7], null, s13, v48, v[5:6]
	v_mov_b32_e32 v5, v12
	v_add_co_u32 v1, vcc_lo, v31, v1
	v_add_co_ci_u32_e32 v2, vcc_lo, v32, v2, vcc_lo
	v_add_co_u32 v7, vcc_lo, v31, v3
	s_delay_alu instid0(VALU_DEP_4) | instskip(SKIP_2) | instid1(VALU_DEP_2)
	v_mad_u64_u32 v[15:16], null, s13, v46, v[5:6]
	v_mad_u64_u32 v[16:17], null, s12, v43, 0
	v_add_co_ci_u32_e32 v8, vcc_lo, v32, v4, vcc_lo
	v_dual_mov_b32 v12, v15 :: v_dual_mov_b32 v15, v17
	s_delay_alu instid0(VALU_DEP_1) | instskip(SKIP_4) | instid1(VALU_DEP_4)
	v_mad_u64_u32 v[17:18], null, s13, v45, v[14:15]
	v_mad_u64_u32 v[18:19], null, s12, v44, 0
	;; [unrolled: 1-line block ×3, first 2 shown]
	v_mov_b32_e32 v10, v6
	v_mad_u64_u32 v[21:22], null, s12, v42, 0
	v_dual_mov_b32 v14, v17 :: v_dual_mov_b32 v15, v19
	s_delay_alu instid0(VALU_DEP_3)
	v_lshlrev_b64 v[9:10], 4, v[9:10]
	v_mov_b32_e32 v17, v20
	s_clause 0x1
	global_load_b128 v[1:4], v[1:2], off
	global_load_b128 v[5:8], v[7:8], off
	v_mad_u64_u32 v[19:20], null, s13, v44, v[15:16]
	v_mov_b32_e32 v15, v22
	v_lshlrev_b64 v[11:12], 4, v[11:12]
	v_add_co_u32 v9, vcc_lo, v31, v9
	v_add_co_ci_u32_e32 v10, vcc_lo, v32, v10, vcc_lo
	s_delay_alu instid0(VALU_DEP_3) | instskip(NEXT) | instid1(VALU_DEP_4)
	v_add_co_u32 v23, vcc_lo, v31, v11
	v_add_co_ci_u32_e32 v24, vcc_lo, v32, v12, vcc_lo
	v_lshlrev_b64 v[11:12], 4, v[13:14]
	v_mad_u64_u32 v[13:14], null, s13, v42, v[15:16]
	v_lshlrev_b64 v[14:15], 4, v[16:17]
	s_delay_alu instid0(VALU_DEP_3) | instskip(NEXT) | instid1(VALU_DEP_4)
	v_add_co_u32 v25, vcc_lo, v31, v11
	v_add_co_ci_u32_e32 v26, vcc_lo, v32, v12, vcc_lo
	s_delay_alu instid0(VALU_DEP_4) | instskip(SKIP_3) | instid1(VALU_DEP_4)
	v_mov_b32_e32 v22, v13
	v_lshlrev_b64 v[11:12], 4, v[18:19]
	v_add_co_u32 v27, vcc_lo, v31, v14
	v_add_co_ci_u32_e32 v28, vcc_lo, v32, v15, vcc_lo
	v_lshlrev_b64 v[13:14], 4, v[21:22]
	s_delay_alu instid0(VALU_DEP_4) | instskip(SKIP_1) | instid1(VALU_DEP_3)
	v_add_co_u32 v29, vcc_lo, v31, v11
	v_add_co_ci_u32_e32 v30, vcc_lo, v32, v12, vcc_lo
	v_add_co_u32 v31, vcc_lo, v31, v13
	s_delay_alu instid0(VALU_DEP_4)
	v_add_co_ci_u32_e32 v32, vcc_lo, v32, v14, vcc_lo
	s_clause 0x5
	global_load_b128 v[9:12], v[9:10], off
	global_load_b128 v[13:16], v[23:24], off
	;; [unrolled: 1-line block ×6, first 2 shown]
	s_waitcnt vmcnt(7)
	ds_store_b128 v33, v[1:4]
	s_waitcnt vmcnt(6)
	ds_store_b128 v33, v[5:8] offset:160
	s_waitcnt vmcnt(5)
	ds_store_b128 v33, v[9:12] offset:320
	;; [unrolled: 2-line block ×7, first 2 shown]
.LBB0_13:
	s_or_b32 exec_lo, exec_lo, s23
	v_and_b32_e32 v1, 0xffff, v0
	s_waitcnt lgkmcnt(0)
	s_barrier
	buffer_gl0_inv
	s_mov_b32 s16, exec_lo
	v_mul_u32_u24_e32 v1, 0xcccd, v1
	s_delay_alu instid0(VALU_DEP_1) | instskip(NEXT) | instid1(VALU_DEP_1)
	v_lshrrev_b32_e32 v56, 19, v1
	v_mul_lo_u16 v1, v56, 10
	v_and_b32_e32 v2, 15, v56
	s_delay_alu instid0(VALU_DEP_2) | instskip(NEXT) | instid1(VALU_DEP_2)
	v_sub_nc_u16 v59, v0, v1
	v_mul_lo_u16 v0, 0x50, v2
	s_delay_alu instid0(VALU_DEP_2) | instskip(NEXT) | instid1(VALU_DEP_2)
	v_and_b32_e32 v55, 0xffff, v59
	v_and_b32_e32 v0, 0xffff, v0
	s_delay_alu instid0(VALU_DEP_2) | instskip(NEXT) | instid1(VALU_DEP_2)
	v_lshlrev_b32_e32 v1, 4, v55
	v_lshlrev_b32_e32 v57, 4, v0
	s_delay_alu instid0(VALU_DEP_2) | instskip(NEXT) | instid1(VALU_DEP_2)
	v_add_nc_u32_e32 v58, 0, v1
	v_add3_u32 v54, 0, v57, v1
	s_delay_alu instid0(VALU_DEP_2)
	v_add_nc_u32_e32 v53, v58, v57
	ds_load_b128 v[28:31], v54
	ds_load_b128 v[32:35], v53 offset:128
	ds_load_b128 v[24:27], v53 offset:256
	ds_load_b128 v[36:39], v53 offset:384
	ds_load_b128 v[20:23], v53 offset:512
	ds_load_b128 v[16:19], v53 offset:640
	ds_load_b128 v[8:11], v53 offset:768
	ds_load_b128 v[12:15], v53 offset:896
	ds_load_b128 v[0:3], v53 offset:1024
	ds_load_b128 v[4:7], v53 offset:1152
	s_waitcnt lgkmcnt(0)
	s_barrier
	buffer_gl0_inv
	v_cmpx_gt_u16_e32 8, v59
	s_cbranch_execz .LBB0_15
; %bb.14:
	v_add_f64 v[59:60], v[18:19], v[14:15]
	v_add_f64 v[61:62], v[38:39], v[6:7]
	v_add_f64 v[63:64], v[16:17], v[12:13]
	v_add_f64 v[65:66], v[36:37], -v[4:5]
	v_add_f64 v[67:68], v[36:37], v[4:5]
	v_add_f64 v[69:70], v[16:17], -v[12:13]
	v_add_f64 v[71:72], v[38:39], -v[6:7]
	s_mov_b32 s12, 0x134454ff
	s_mov_b32 s13, 0xbfee6f0e
	;; [unrolled: 1-line block ×4, first 2 shown]
	v_add_f64 v[73:74], v[38:39], -v[18:19]
	v_add_f64 v[75:76], v[6:7], -v[14:15]
	v_add_f64 v[77:78], v[22:23], v[10:11]
	v_add_f64 v[79:80], v[26:27], v[2:3]
	v_add_f64 v[81:82], v[18:19], -v[38:39]
	v_add_f64 v[83:84], v[14:15], -v[6:7]
	v_add_f64 v[85:86], v[20:21], v[8:9]
	v_add_f64 v[87:88], v[18:19], -v[14:15]
	v_add_f64 v[93:94], v[24:25], v[0:1]
	v_add_f64 v[95:96], v[36:37], -v[16:17]
	v_add_f64 v[97:98], v[4:5], -v[12:13]
	s_mov_b32 s18, 0x4755a5e
	s_mov_b32 s19, 0xbfe2cf23
	;; [unrolled: 1-line block ×4, first 2 shown]
	v_add_f64 v[103:104], v[16:17], -v[36:37]
	v_add_f64 v[101:102], v[24:25], -v[0:1]
	;; [unrolled: 1-line block ×6, first 2 shown]
	s_mov_b32 s26, 0x372fe950
	s_mov_b32 s27, 0x3fd3c6ef
	;; [unrolled: 1-line block ×6, first 2 shown]
	v_fma_f64 v[59:60], v[59:60], -0.5, v[34:35]
	v_fma_f64 v[61:62], v[61:62], -0.5, v[34:35]
	v_fma_f64 v[63:64], v[63:64], -0.5, v[32:33]
	v_add_f64 v[34:35], v[34:35], v[38:39]
	v_fma_f64 v[67:68], v[67:68], -0.5, v[32:33]
	v_add_f64 v[32:33], v[32:33], v[36:37]
	v_add_f64 v[36:37], v[30:31], v[26:27]
	;; [unrolled: 1-line block ×4, first 2 shown]
	v_fma_f64 v[77:78], v[77:78], -0.5, v[30:31]
	v_fma_f64 v[30:31], v[79:80], -0.5, v[30:31]
	v_add_f64 v[75:76], v[81:82], v[83:84]
	v_fma_f64 v[79:80], v[85:86], -0.5, v[28:29]
	v_fma_f64 v[28:29], v[93:94], -0.5, v[28:29]
	v_add_f64 v[93:94], v[2:3], -v[10:11]
	v_fma_f64 v[89:90], v[65:66], s[12:13], v[59:60]
	v_fma_f64 v[91:92], v[69:70], s[0:1], v[61:62]
	;; [unrolled: 1-line block ×8, first 2 shown]
	v_add_f64 v[18:19], v[34:35], v[18:19]
	v_add_f64 v[16:17], v[32:33], v[16:17]
	;; [unrolled: 1-line block ×3, first 2 shown]
	v_fma_f64 v[32:33], v[101:102], s[12:13], v[77:78]
	v_fma_f64 v[83:84], v[69:70], s[18:19], v[89:90]
	;; [unrolled: 1-line block ×4, first 2 shown]
	v_add_f64 v[65:66], v[95:96], v[97:98]
	v_fma_f64 v[89:90], v[87:88], s[18:19], v[99:100]
	v_fma_f64 v[59:60], v[69:70], s[14:15], v[59:60]
	v_add_f64 v[69:70], v[26:27], -v[22:23]
	v_add_f64 v[26:27], v[22:23], -v[26:27]
	;; [unrolled: 1-line block ×4, first 2 shown]
	v_add_f64 v[22:23], v[36:37], v[22:23]
	v_add_f64 v[20:21], v[38:39], v[20:21]
	v_add_f64 v[95:96], v[10:11], -v[2:3]
	v_add_f64 v[97:98], v[0:1], -v[8:9]
	;; [unrolled: 1-line block ×3, first 2 shown]
	v_fma_f64 v[36:37], v[105:106], s[0:1], v[30:31]
	v_fma_f64 v[30:31], v[105:106], s[12:13], v[30:31]
	;; [unrolled: 1-line block ×8, first 2 shown]
	v_add_f64 v[14:15], v[18:19], v[14:15]
	v_add_f64 v[12:13], v[16:17], v[12:13]
	v_fma_f64 v[16:17], v[105:106], s[18:19], v[32:33]
	v_fma_f64 v[71:72], v[73:74], s[26:27], v[83:84]
	;; [unrolled: 1-line block ×8, first 2 shown]
	v_add_f64 v[69:70], v[69:70], v[93:94]
	v_add_f64 v[10:11], v[22:23], v[10:11]
	;; [unrolled: 1-line block ×6, first 2 shown]
	v_fma_f64 v[18:19], v[101:102], s[18:19], v[36:37]
	v_fma_f64 v[20:21], v[101:102], s[14:15], v[30:31]
	;; [unrolled: 1-line block ×7, first 2 shown]
	v_add_f64 v[6:7], v[14:15], v[6:7]
	v_add_f64 v[4:5], v[12:13], v[4:5]
	v_mul_f64 v[38:39], v[71:72], s[28:29]
	v_mul_f64 v[63:64], v[83:84], s[30:31]
	;; [unrolled: 1-line block ×3, first 2 shown]
	v_fma_f64 v[67:68], v[109:110], s[14:15], v[75:76]
	v_fma_f64 v[75:76], v[111:112], s[18:19], v[79:80]
	v_mul_f64 v[77:78], v[85:86], s[14:15]
	v_mul_f64 v[79:80], v[59:60], s[18:19]
	v_fma_f64 v[28:29], v[109:110], s[18:19], v[28:29]
	v_mul_f64 v[61:62], v[61:62], s[12:13]
	v_mul_f64 v[81:82], v[83:84], s[12:13]
	;; [unrolled: 1-line block ×3, first 2 shown]
	s_mov_b32 s13, 0x3fe9e377
	s_mov_b32 s12, s28
	v_add_f64 v[10:11], v[10:11], v[2:3]
	v_add_f64 v[8:9], v[8:9], v[0:1]
	v_fma_f64 v[12:13], v[69:70], s[26:27], v[16:17]
	v_fma_f64 v[16:17], v[26:27], s[26:27], v[18:19]
	;; [unrolled: 1-line block ×16, first 2 shown]
	v_add_f64 v[2:3], v[10:11], -v[6:7]
	v_add_f64 v[0:1], v[8:9], -v[4:5]
	v_add_f64 v[6:7], v[10:11], v[6:7]
	v_add_f64 v[4:5], v[8:9], v[4:5]
	v_add_f64 v[10:11], v[12:13], -v[22:23]
	v_add_f64 v[14:15], v[16:17], -v[26:27]
	;; [unrolled: 1-line block ×3, first 2 shown]
	v_add_f64 v[30:31], v[20:21], v[30:31]
	v_add_f64 v[26:27], v[16:17], v[26:27]
	;; [unrolled: 1-line block ×8, first 2 shown]
	v_add_f64 v[38:39], v[69:70], -v[38:39]
	v_add_f64 v[36:37], v[67:68], -v[59:60]
	;; [unrolled: 1-line block ×5, first 2 shown]
	v_mul_u32_u24_e32 v59, 0x90, v55
	s_delay_alu instid0(VALU_DEP_1)
	v_add3_u32 v57, v58, v59, v57
	ds_store_b128 v57, v[4:7]
	ds_store_b128 v57, v[32:35] offset:16
	ds_store_b128 v57, v[28:31] offset:32
	;; [unrolled: 1-line block ×9, first 2 shown]
.LBB0_15:
	s_or_b32 exec_lo, exec_lo, s16
	v_mul_u32_u24_e32 v0, 7, v55
	s_load_b64 s[0:1], s[10:11], 0x0
	s_waitcnt lgkmcnt(0)
	s_barrier
	buffer_gl0_inv
	v_lshlrev_b32_e32 v12, 4, v0
	v_and_b32_e32 v28, 0xffff, v56
	v_add_nc_u32_e32 v29, 10, v55
	v_add_nc_u32_e32 v30, 20, v55
	;; [unrolled: 1-line block ×3, first 2 shown]
	s_clause 0x6
	global_load_b128 v[8:11], v12, s[24:25]
	global_load_b128 v[4:7], v12, s[24:25] offset:16
	global_load_b128 v[0:3], v12, s[24:25] offset:48
	;; [unrolled: 1-line block ×6, first 2 shown]
	v_add_nc_u32_e32 v28, s22, v28
	v_add_nc_u32_e32 v32, 40, v55
	;; [unrolled: 1-line block ×5, first 2 shown]
	v_mul_lo_u32 v29, v28, v29
	v_mul_lo_u32 v30, v28, v30
	v_mul_lo_u32 v36, v28, v55
	v_mul_lo_u32 v34, v28, v34
	v_mul_lo_u32 v32, v28, v32
	v_mul_lo_u32 v31, v28, v31
	v_mul_lo_u32 v33, v28, v33
	v_mul_lo_u32 v28, v28, v35
	v_and_b32_e32 v37, 0xff, v29
	v_lshrrev_b32_e32 v29, 4, v29
	v_and_b32_e32 v38, 0xff, v30
	v_and_b32_e32 v35, 0xff, v36
	v_lshrrev_b32_e32 v30, 4, v30
	v_lshrrev_b32_e32 v36, 4, v36
	v_and_b32_e32 v57, 0xff, v34
	s_movk_i32 s10, 0xff0
	v_and_b32_e32 v55, 0xff, v32
	v_lshrrev_b32_e32 v34, 4, v34
	v_and_b32_e32 v39, 0xff, v31
	v_lshrrev_b32_e32 v31, 4, v31
	v_lshrrev_b32_e32 v32, 4, v32
	v_and_b32_e32 v56, 0xff, v33
	v_lshrrev_b32_e32 v33, 4, v33
	v_and_b32_e32 v58, 0xff, v28
	v_lshrrev_b32_e32 v28, 4, v28
	v_and_or_b32 v103, v29, s10, 0x1000
	v_lshlrev_b32_e32 v29, 4, v38
	v_lshlrev_b32_e32 v75, 4, v35
	v_and_or_b32 v35, v30, s10, 0x1000
	v_and_or_b32 v79, v36, s10, 0x1000
	v_lshlrev_b32_e32 v36, 4, v57
	v_lshlrev_b32_e32 v83, 4, v55
	v_and_or_b32 v55, v34, s10, 0x1000
	v_lshlrev_b32_e32 v99, 4, v37
	v_lshlrev_b32_e32 v67, 4, v39
	v_and_or_b32 v71, v31, s10, 0x1000
	v_and_or_b32 v87, v32, s10, 0x1000
	v_lshlrev_b32_e32 v91, 4, v56
	v_lshlrev_b32_e32 v59, 4, v58
	v_and_or_b32 v63, v28, s10, 0x1000
	v_and_or_b32 v95, v33, s10, 0x1000
	s_clause 0xf
	global_load_b128 v[28:31], v29, s[8:9]
	global_load_b128 v[32:35], v35, s[8:9]
	;; [unrolled: 1-line block ×16, first 2 shown]
	ds_load_b128 v[107:110], v53 offset:160
	ds_load_b128 v[111:114], v53 offset:320
	ds_load_b128 v[115:118], v54
	ds_load_b128 v[119:122], v53 offset:480
	ds_load_b128 v[123:126], v53 offset:640
	ds_load_b128 v[127:130], v53 offset:800
	ds_load_b128 v[131:134], v53 offset:960
	ds_load_b128 v[135:138], v53 offset:1120
	s_mov_b32 s8, 0x667f3bcd
	s_mov_b32 s9, 0xbfe6a09e
	s_mov_b32 s11, 0x3fe6a09e
	s_mov_b32 s10, s8
	s_waitcnt vmcnt(0) lgkmcnt(0)
	s_barrier
	buffer_gl0_inv
	v_mul_f64 v[139:140], v[109:110], v[10:11]
	v_mul_f64 v[10:11], v[107:108], v[10:11]
	;; [unrolled: 1-line block ×7, first 2 shown]
	v_fma_f64 v[107:108], v[107:108], v[8:9], v[139:140]
	v_fma_f64 v[8:9], v[109:110], v[8:9], -v[10:11]
	v_mul_f64 v[10:11], v[127:128], v[22:23]
	v_mul_f64 v[22:23], v[133:134], v[26:27]
	;; [unrolled: 1-line block ×4, first 2 shown]
	v_fma_f64 v[111:112], v[111:112], v[4:5], v[141:142]
	v_fma_f64 v[4:5], v[113:114], v[4:5], -v[6:7]
	v_mul_f64 v[6:7], v[119:120], v[18:19]
	v_mul_f64 v[18:19], v[135:136], v[14:15]
	;; [unrolled: 1-line block ×3, first 2 shown]
	v_fma_f64 v[113:114], v[123:124], v[0:1], v[143:144]
	v_fma_f64 v[0:1], v[125:126], v[0:1], -v[2:3]
	v_mul_f64 v[123:124], v[59:60], v[65:66]
	v_mul_f64 v[125:126], v[67:68], v[73:74]
	;; [unrolled: 1-line block ×4, first 2 shown]
	v_fma_f64 v[10:11], v[129:130], v[20:21], -v[10:11]
	v_fma_f64 v[2:3], v[131:132], v[24:25], v[22:23]
	v_fma_f64 v[22:23], v[133:134], v[24:25], -v[26:27]
	v_fma_f64 v[24:25], v[127:128], v[20:21], v[145:146]
	v_fma_f64 v[20:21], v[119:120], v[16:17], v[109:110]
	v_mul_f64 v[119:120], v[36:37], v[57:58]
	v_fma_f64 v[6:7], v[121:122], v[16:17], -v[6:7]
	v_fma_f64 v[16:17], v[137:138], v[12:13], -v[18:19]
	v_fma_f64 v[12:13], v[135:136], v[12:13], v[14:15]
	v_add_f64 v[14:15], v[115:116], -v[113:114]
	v_add_f64 v[0:1], v[117:118], -v[0:1]
	v_mul_f64 v[121:122], v[28:29], v[34:35]
	v_mul_f64 v[127:128], v[91:92], v[97:98]
	;; [unrolled: 1-line block ×5, first 2 shown]
	v_fma_f64 v[61:62], v[61:62], v[63:64], v[123:124]
	v_fma_f64 v[69:70], v[69:70], v[71:72], v[125:126]
	v_add_f64 v[10:11], v[8:9], -v[10:11]
	v_add_f64 v[2:3], v[111:112], -v[2:3]
	;; [unrolled: 1-line block ×4, first 2 shown]
	v_fma_f64 v[38:39], v[38:39], v[55:56], v[119:120]
	v_add_f64 v[16:17], v[6:7], -v[16:17]
	v_add_f64 v[12:13], v[20:21], -v[12:13]
	v_fma_f64 v[24:25], v[115:116], 2.0, -v[14:15]
	v_fma_f64 v[26:27], v[117:118], 2.0, -v[0:1]
	v_fma_f64 v[30:31], v[30:31], v[32:33], v[121:122]
	v_fma_f64 v[8:9], v[8:9], 2.0, -v[10:11]
	v_fma_f64 v[109:110], v[111:112], 2.0, -v[2:3]
	;; [unrolled: 1-line block ×4, first 2 shown]
	v_add_f64 v[18:19], v[14:15], v[18:19]
	v_add_f64 v[2:3], v[0:1], -v[2:3]
	v_fma_f64 v[6:7], v[6:7], 2.0, -v[16:17]
	v_fma_f64 v[20:21], v[20:21], 2.0, -v[12:13]
	v_add_f64 v[12:13], v[10:11], -v[12:13]
	v_add_f64 v[16:17], v[22:23], v[16:17]
	v_add_f64 v[109:110], v[24:25], -v[109:110]
	v_add_f64 v[4:5], v[26:27], -v[4:5]
	v_fma_f64 v[14:15], v[14:15], 2.0, -v[18:19]
	v_fma_f64 v[0:1], v[0:1], 2.0, -v[2:3]
	v_add_f64 v[6:7], v[8:9], -v[6:7]
	v_add_f64 v[20:21], v[107:108], -v[20:21]
	v_fma_f64 v[10:11], v[10:11], 2.0, -v[12:13]
	v_fma_f64 v[22:23], v[22:23], 2.0, -v[16:17]
	v_fma_f64 v[111:112], v[12:13], s[10:11], v[2:3]
	v_fma_f64 v[113:114], v[16:17], s[10:11], v[18:19]
	v_fma_f64 v[24:25], v[24:25], 2.0, -v[109:110]
	v_fma_f64 v[26:27], v[26:27], 2.0, -v[4:5]
	v_fma_f64 v[8:9], v[8:9], 2.0, -v[6:7]
	v_fma_f64 v[107:108], v[107:108], 2.0, -v[20:21]
	v_fma_f64 v[115:116], v[10:11], s[8:9], v[0:1]
	v_fma_f64 v[117:118], v[22:23], s[8:9], v[14:15]
	v_add_f64 v[20:21], v[4:5], -v[20:21]
	v_add_f64 v[6:7], v[109:110], v[6:7]
	v_fma_f64 v[16:17], v[16:17], s[8:9], v[111:112]
	v_fma_f64 v[12:13], v[12:13], s[10:11], v[113:114]
	v_mul_f64 v[111:112], v[83:84], v[89:90]
	v_mul_f64 v[113:114], v[75:76], v[81:82]
	v_add_f64 v[131:132], v[26:27], -v[8:9]
	v_add_f64 v[107:108], v[24:25], -v[107:108]
	v_fma_f64 v[22:23], v[22:23], s[8:9], v[115:116]
	v_fma_f64 v[115:116], v[10:11], s[10:11], v[117:118]
	v_mul_f64 v[8:9], v[77:78], v[81:82]
	v_mul_f64 v[10:11], v[101:102], v[105:106]
	;; [unrolled: 1-line block ×4, first 2 shown]
	v_fma_f64 v[97:98], v[4:5], 2.0, -v[20:21]
	v_fma_f64 v[105:106], v[109:110], 2.0, -v[6:7]
	;; [unrolled: 1-line block ×4, first 2 shown]
	v_fma_f64 v[2:3], v[85:86], v[87:88], v[111:112]
	v_fma_f64 v[4:5], v[77:78], v[79:80], v[113:114]
	;; [unrolled: 1-line block ×4, first 2 shown]
	v_fma_f64 v[26:27], v[26:27], 2.0, -v[131:132]
	v_fma_f64 v[24:25], v[24:25], 2.0, -v[107:108]
	;; [unrolled: 1-line block ×4, first 2 shown]
	v_fma_f64 v[75:76], v[75:76], v[79:80], -v[8:9]
	v_fma_f64 v[8:9], v[36:37], v[55:56], -v[57:58]
	v_mul_f64 v[0:1], v[20:21], v[38:39]
	v_mul_f64 v[36:37], v[6:7], v[38:39]
	v_fma_f64 v[79:80], v[99:100], v[103:104], -v[10:11]
	v_fma_f64 v[10:11], v[28:29], v[32:33], -v[34:35]
	v_fma_f64 v[34:35], v[59:60], v[63:64], -v[65:66]
	v_mul_f64 v[38:39], v[16:17], v[61:62]
	v_mul_f64 v[54:55], v[12:13], v[61:62]
	;; [unrolled: 1-line block ×4, first 2 shown]
	v_fma_f64 v[14:15], v[67:68], v[71:72], -v[73:74]
	v_mul_f64 v[58:59], v[109:110], v[69:70]
	v_mul_f64 v[60:61], v[18:19], v[69:70]
	v_fma_f64 v[28:29], v[83:84], v[87:88], -v[81:82]
	v_mul_f64 v[62:63], v[131:132], v[2:3]
	v_mul_f64 v[64:65], v[107:108], v[2:3]
	;; [unrolled: 3-line block ×3, first 2 shown]
	v_mul_f64 v[70:71], v[4:5], v[26:27]
	v_mul_f64 v[72:73], v[4:5], v[24:25]
	;; [unrolled: 1-line block ×4, first 2 shown]
	v_fma_f64 v[0:1], v[6:7], v[8:9], v[0:1]
	v_fma_f64 v[2:3], v[20:21], v[8:9], -v[36:37]
	v_fma_f64 v[4:5], v[12:13], v[34:35], v[38:39]
	v_fma_f64 v[6:7], v[16:17], v[34:35], -v[54:55]
	;; [unrolled: 2-line block ×8, first 2 shown]
	ds_store_b128 v53, v[0:3] offset:960
	ds_store_b128 v53, v[4:7] offset:1120
	;; [unrolled: 1-line block ×6, first 2 shown]
	ds_store_b128 v53, v[24:27]
	ds_store_b128 v53, v[28:31] offset:160
	s_waitcnt lgkmcnt(0)
	s_barrier
	buffer_gl0_inv
	s_and_saveexec_b32 s8, s21
	s_cbranch_execz .LBB0_17
; %bb.16:
	v_mad_u64_u32 v[4:5], null, s6, v49, 0
	v_mad_u64_u32 v[6:7], null, s4, v50, 0
	s_mul_i32 s1, s1, s20
	s_mul_hi_u32 s6, s0, s20
	v_mad_u64_u32 v[11:12], null, s4, v47, 0
	s_delay_alu instid0(VALU_DEP_3) | instskip(SKIP_1) | instid1(VALU_DEP_4)
	v_mov_b32_e32 v0, v5
	v_mad_u64_u32 v[13:14], null, s4, v48, 0
	v_mov_b32_e32 v1, v7
	s_mul_i32 s0, s0, s20
	s_add_i32 s1, s6, s1
	v_add3_u32 v31, 0, v51, v52
	s_lshl_b64 s[0:1], s[0:1], 4
	v_mad_u64_u32 v[7:8], null, s7, v49, v[0:1]
	v_mad_u64_u32 v[8:9], null, s5, v50, v[1:2]
	v_lshlrev_b64 v[9:10], 4, v[40:41]
	s_add_u32 s0, s2, s0
	ds_load_b128 v[0:3], v31
	s_addc_u32 s1, s3, s1
	v_mov_b32_e32 v5, v7
	v_mad_u64_u32 v[20:21], null, s4, v44, 0
	v_mov_b32_e32 v7, v8
	v_add_co_u32 v17, vcc_lo, s0, v9
	v_dual_mov_b32 v8, v12 :: v_dual_mov_b32 v9, v14
	v_lshlrev_b64 v[4:5], 4, v[4:5]
	v_add_co_ci_u32_e32 v10, vcc_lo, s1, v10, vcc_lo
	v_mad_u64_u32 v[22:23], null, s4, v42, 0
	s_delay_alu instid0(VALU_DEP_4) | instskip(NEXT) | instid1(VALU_DEP_4)
	v_mad_u64_u32 v[14:15], null, s5, v47, v[8:9]
	v_add_co_u32 v32, vcc_lo, v17, v4
	s_delay_alu instid0(VALU_DEP_4) | instskip(SKIP_1) | instid1(VALU_DEP_4)
	v_add_co_ci_u32_e32 v33, vcc_lo, v10, v5, vcc_lo
	v_mad_u64_u32 v[15:16], null, s5, v48, v[9:10]
	v_mov_b32_e32 v12, v14
	v_lshlrev_b64 v[6:7], 4, v[6:7]
	s_delay_alu instid0(VALU_DEP_3) | instskip(NEXT) | instid1(VALU_DEP_2)
	v_mov_b32_e32 v14, v15
	v_add_co_u32 v8, vcc_lo, v32, v6
	s_delay_alu instid0(VALU_DEP_3)
	v_add_co_ci_u32_e32 v9, vcc_lo, v33, v7, vcc_lo
	v_mad_u64_u32 v[15:16], null, s4, v46, 0
	ds_load_b128 v[4:7], v31 offset:160
	s_waitcnt lgkmcnt(1)
	global_store_b128 v[8:9], v[0:3], off
	ds_load_b128 v[0:3], v31 offset:320
	v_lshlrev_b64 v[8:9], 4, v[11:12]
	v_lshlrev_b64 v[10:11], 4, v[13:14]
	v_mad_u64_u32 v[12:13], null, s4, v45, 0
	v_mov_b32_e32 v14, v16
	s_delay_alu instid0(VALU_DEP_4) | instskip(SKIP_1) | instid1(VALU_DEP_3)
	v_add_co_u32 v8, vcc_lo, v32, v8
	v_add_co_ci_u32_e32 v9, vcc_lo, v33, v9, vcc_lo
	v_mad_u64_u32 v[16:17], null, s5, v46, v[14:15]
	v_add_co_u32 v10, vcc_lo, v32, v10
	v_mad_u64_u32 v[17:18], null, s5, v45, v[13:14]
	v_add_co_ci_u32_e32 v11, vcc_lo, v33, v11, vcc_lo
	v_mad_u64_u32 v[18:19], null, s4, v43, 0
	s_waitcnt lgkmcnt(1)
	global_store_b128 v[8:9], v[4:7], off
	ds_load_b128 v[4:7], v31 offset:480
	v_mov_b32_e32 v13, v17
	s_waitcnt lgkmcnt(1)
	global_store_b128 v[10:11], v[0:3], off
	v_lshlrev_b64 v[0:1], 4, v[15:16]
	v_mov_b32_e32 v2, v19
	v_lshlrev_b64 v[8:9], 4, v[12:13]
	s_delay_alu instid0(VALU_DEP_3) | instskip(SKIP_1) | instid1(VALU_DEP_4)
	v_add_co_u32 v24, vcc_lo, v32, v0
	v_mov_b32_e32 v0, v21
	v_mad_u64_u32 v[10:11], null, s5, v43, v[2:3]
	v_add_co_ci_u32_e32 v25, vcc_lo, v33, v1, vcc_lo
	s_delay_alu instid0(VALU_DEP_3)
	v_mad_u64_u32 v[1:2], null, s5, v44, v[0:1]
	v_mov_b32_e32 v0, v23
	v_add_co_u32 v26, vcc_lo, v32, v8
	v_mov_b32_e32 v19, v10
	v_add_co_ci_u32_e32 v27, vcc_lo, v33, v9, vcc_lo
	v_mov_b32_e32 v21, v1
	v_mad_u64_u32 v[28:29], null, s5, v42, v[0:1]
	ds_load_b128 v[0:3], v31 offset:640
	ds_load_b128 v[8:11], v31 offset:800
	v_lshlrev_b64 v[29:30], 4, v[18:19]
	ds_load_b128 v[12:15], v31 offset:960
	ds_load_b128 v[16:19], v31 offset:1120
	v_lshlrev_b64 v[20:21], 4, v[20:21]
	v_mov_b32_e32 v23, v28
	v_add_co_u32 v28, vcc_lo, v32, v29
	v_add_co_ci_u32_e32 v29, vcc_lo, v33, v30, vcc_lo
	s_delay_alu instid0(VALU_DEP_3) | instskip(SKIP_2) | instid1(VALU_DEP_3)
	v_lshlrev_b64 v[22:23], 4, v[22:23]
	v_add_co_u32 v20, vcc_lo, v32, v20
	v_add_co_ci_u32_e32 v21, vcc_lo, v33, v21, vcc_lo
	v_add_co_u32 v22, vcc_lo, v32, v22
	s_delay_alu instid0(VALU_DEP_4)
	v_add_co_ci_u32_e32 v23, vcc_lo, v33, v23, vcc_lo
	s_waitcnt lgkmcnt(4)
	global_store_b128 v[24:25], v[4:7], off
	s_waitcnt lgkmcnt(3)
	global_store_b128 v[26:27], v[0:3], off
	;; [unrolled: 2-line block ×5, first 2 shown]
.LBB0_17:
	s_nop 0
	s_sendmsg sendmsg(MSG_DEALLOC_VGPRS)
	s_endpgm
	.section	.rodata,"a",@progbits
	.p2align	6, 0x0
	.amdhsa_kernel fft_rtc_back_len80_factors_10_8_wgs_160_tpt_10_dp_op_CI_CI_sbcc_twdbase8_2step
		.amdhsa_group_segment_fixed_size 0
		.amdhsa_private_segment_fixed_size 0
		.amdhsa_kernarg_size 112
		.amdhsa_user_sgpr_count 15
		.amdhsa_user_sgpr_dispatch_ptr 0
		.amdhsa_user_sgpr_queue_ptr 0
		.amdhsa_user_sgpr_kernarg_segment_ptr 1
		.amdhsa_user_sgpr_dispatch_id 0
		.amdhsa_user_sgpr_private_segment_size 0
		.amdhsa_wavefront_size32 1
		.amdhsa_uses_dynamic_stack 0
		.amdhsa_enable_private_segment 0
		.amdhsa_system_sgpr_workgroup_id_x 1
		.amdhsa_system_sgpr_workgroup_id_y 0
		.amdhsa_system_sgpr_workgroup_id_z 0
		.amdhsa_system_sgpr_workgroup_info 0
		.amdhsa_system_vgpr_workitem_id 0
		.amdhsa_next_free_vgpr 147
		.amdhsa_next_free_sgpr 55
		.amdhsa_reserve_vcc 1
		.amdhsa_float_round_mode_32 0
		.amdhsa_float_round_mode_16_64 0
		.amdhsa_float_denorm_mode_32 3
		.amdhsa_float_denorm_mode_16_64 3
		.amdhsa_dx10_clamp 1
		.amdhsa_ieee_mode 1
		.amdhsa_fp16_overflow 0
		.amdhsa_workgroup_processor_mode 1
		.amdhsa_memory_ordered 1
		.amdhsa_forward_progress 0
		.amdhsa_shared_vgpr_count 0
		.amdhsa_exception_fp_ieee_invalid_op 0
		.amdhsa_exception_fp_denorm_src 0
		.amdhsa_exception_fp_ieee_div_zero 0
		.amdhsa_exception_fp_ieee_overflow 0
		.amdhsa_exception_fp_ieee_underflow 0
		.amdhsa_exception_fp_ieee_inexact 0
		.amdhsa_exception_int_div_zero 0
	.end_amdhsa_kernel
	.text
.Lfunc_end0:
	.size	fft_rtc_back_len80_factors_10_8_wgs_160_tpt_10_dp_op_CI_CI_sbcc_twdbase8_2step, .Lfunc_end0-fft_rtc_back_len80_factors_10_8_wgs_160_tpt_10_dp_op_CI_CI_sbcc_twdbase8_2step
                                        ; -- End function
	.section	.AMDGPU.csdata,"",@progbits
; Kernel info:
; codeLenInByte = 6448
; NumSgprs: 57
; NumVgprs: 147
; ScratchSize: 0
; MemoryBound: 0
; FloatMode: 240
; IeeeMode: 1
; LDSByteSize: 0 bytes/workgroup (compile time only)
; SGPRBlocks: 7
; VGPRBlocks: 18
; NumSGPRsForWavesPerEU: 57
; NumVGPRsForWavesPerEU: 147
; Occupancy: 9
; WaveLimiterHint : 1
; COMPUTE_PGM_RSRC2:SCRATCH_EN: 0
; COMPUTE_PGM_RSRC2:USER_SGPR: 15
; COMPUTE_PGM_RSRC2:TRAP_HANDLER: 0
; COMPUTE_PGM_RSRC2:TGID_X_EN: 1
; COMPUTE_PGM_RSRC2:TGID_Y_EN: 0
; COMPUTE_PGM_RSRC2:TGID_Z_EN: 0
; COMPUTE_PGM_RSRC2:TIDIG_COMP_CNT: 0
	.text
	.p2alignl 7, 3214868480
	.fill 96, 4, 3214868480
	.type	__hip_cuid_d03c3db17ef937da,@object ; @__hip_cuid_d03c3db17ef937da
	.section	.bss,"aw",@nobits
	.globl	__hip_cuid_d03c3db17ef937da
__hip_cuid_d03c3db17ef937da:
	.byte	0                               ; 0x0
	.size	__hip_cuid_d03c3db17ef937da, 1

	.ident	"AMD clang version 19.0.0git (https://github.com/RadeonOpenCompute/llvm-project roc-6.4.0 25133 c7fe45cf4b819c5991fe208aaa96edf142730f1d)"
	.section	".note.GNU-stack","",@progbits
	.addrsig
	.addrsig_sym __hip_cuid_d03c3db17ef937da
	.amdgpu_metadata
---
amdhsa.kernels:
  - .args:
      - .actual_access:  read_only
        .address_space:  global
        .offset:         0
        .size:           8
        .value_kind:     global_buffer
      - .address_space:  global
        .offset:         8
        .size:           8
        .value_kind:     global_buffer
      - .offset:         16
        .size:           8
        .value_kind:     by_value
      - .actual_access:  read_only
        .address_space:  global
        .offset:         24
        .size:           8
        .value_kind:     global_buffer
      - .actual_access:  read_only
        .address_space:  global
        .offset:         32
        .size:           8
        .value_kind:     global_buffer
      - .actual_access:  read_only
        .address_space:  global
        .offset:         40
        .size:           8
        .value_kind:     global_buffer
      - .offset:         48
        .size:           8
        .value_kind:     by_value
      - .actual_access:  read_only
        .address_space:  global
        .offset:         56
        .size:           8
        .value_kind:     global_buffer
      - .actual_access:  read_only
        .address_space:  global
        .offset:         64
        .size:           8
        .value_kind:     global_buffer
      - .offset:         72
        .size:           4
        .value_kind:     by_value
      - .actual_access:  read_only
        .address_space:  global
        .offset:         80
        .size:           8
        .value_kind:     global_buffer
      - .actual_access:  read_only
        .address_space:  global
        .offset:         88
        .size:           8
        .value_kind:     global_buffer
      - .actual_access:  read_only
        .address_space:  global
        .offset:         96
        .size:           8
        .value_kind:     global_buffer
      - .actual_access:  write_only
        .address_space:  global
        .offset:         104
        .size:           8
        .value_kind:     global_buffer
    .group_segment_fixed_size: 0
    .kernarg_segment_align: 8
    .kernarg_segment_size: 112
    .language:       OpenCL C
    .language_version:
      - 2
      - 0
    .max_flat_workgroup_size: 160
    .name:           fft_rtc_back_len80_factors_10_8_wgs_160_tpt_10_dp_op_CI_CI_sbcc_twdbase8_2step
    .private_segment_fixed_size: 0
    .sgpr_count:     57
    .sgpr_spill_count: 0
    .symbol:         fft_rtc_back_len80_factors_10_8_wgs_160_tpt_10_dp_op_CI_CI_sbcc_twdbase8_2step.kd
    .uniform_work_group_size: 1
    .uses_dynamic_stack: false
    .vgpr_count:     147
    .vgpr_spill_count: 0
    .wavefront_size: 32
    .workgroup_processor_mode: 1
amdhsa.target:   amdgcn-amd-amdhsa--gfx1100
amdhsa.version:
  - 1
  - 2
...

	.end_amdgpu_metadata
